;; amdgpu-corpus repo=ROCm/rocFFT kind=compiled arch=gfx1201 opt=O3
	.text
	.amdgcn_target "amdgcn-amd-amdhsa--gfx1201"
	.amdhsa_code_object_version 6
	.protected	fft_rtc_back_len49_factors_7_7_wgs_196_tpt_7_half_op_CI_CI_sbrc_z_xy_diag ; -- Begin function fft_rtc_back_len49_factors_7_7_wgs_196_tpt_7_half_op_CI_CI_sbrc_z_xy_diag
	.globl	fft_rtc_back_len49_factors_7_7_wgs_196_tpt_7_half_op_CI_CI_sbrc_z_xy_diag
	.p2align	8
	.type	fft_rtc_back_len49_factors_7_7_wgs_196_tpt_7_half_op_CI_CI_sbrc_z_xy_diag,@function
fft_rtc_back_len49_factors_7_7_wgs_196_tpt_7_half_op_CI_CI_sbrc_z_xy_diag: ; @fft_rtc_back_len49_factors_7_7_wgs_196_tpt_7_half_op_CI_CI_sbrc_z_xy_diag
; %bb.0:
	s_load_b256 s[4:11], s[0:1], 0x0
	v_mul_u32_u24_e32 v1, 0x53a, v0
	s_delay_alu instid0(VALU_DEP_1) | instskip(NEXT) | instid1(VALU_DEP_1)
	v_lshrrev_b32_e32 v18, 16, v1
	v_mul_lo_u16 v1, v18, 49
	s_delay_alu instid0(VALU_DEP_1) | instskip(SKIP_3) | instid1(VALU_DEP_1)
	v_sub_nc_u16 v1, v0, v1
	s_wait_kmcnt 0x0
	s_load_b128 s[12:15], s[8:9], 0x8
	s_load_b128 s[16:19], s[10:11], 0x0
	v_and_b32_e32 v19, 0xffff, v1
	s_mov_b32 s9, 0
	s_wait_kmcnt 0x0
	s_add_co_i32 s2, s12, -1
	v_mul_lo_u32 v1, s18, v18
	s_lshr_b32 s2, s2, 2
	s_delay_alu instid0(SALU_CYCLE_1) | instskip(NEXT) | instid1(SALU_CYCLE_1)
	s_mul_hi_u32 s2, s2, 0x24924925
	s_add_co_i32 s2, s2, 1
	s_delay_alu instid0(SALU_CYCLE_1)
	s_mul_i32 s2, s2, s14
	s_clause 0x1
	s_load_b128 s[12:15], s[0:1], 0x58
	s_load_b64 s[20:21], s[0:1], 0x20
	s_cvt_f32_u32 s3, s2
	s_sub_co_i32 s8, 0, s2
	s_delay_alu instid0(SALU_CYCLE_2) | instskip(NEXT) | instid1(TRANS32_DEP_1)
	v_rcp_iflag_f32_e32 v2, s3
	v_readfirstlane_b32 s3, v2
	v_mov_b32_e32 v2, 0
	v_mad_co_u64_u32 v[3:4], null, s16, v19, 0
	s_delay_alu instid0(VALU_DEP_3) | instskip(NEXT) | instid1(VALU_DEP_2)
	s_mul_f32 s3, s3, 0x4f7ffffe
	v_lshlrev_b64_e32 v[5:6], 2, v[1:2]
	s_wait_alu 0xfffe
	s_delay_alu instid0(SALU_CYCLE_1) | instskip(NEXT) | instid1(VALU_DEP_1)
	s_cvt_u32_f32 s3, s3
	v_mad_co_u64_u32 v[7:8], null, s17, v19, v[4:5]
	s_wait_alu 0xfffe
	s_delay_alu instid0(SALU_CYCLE_1) | instskip(SKIP_2) | instid1(SALU_CYCLE_1)
	s_mul_i32 s8, s8, s3
	s_mov_b32 s17, s9
	s_mul_hi_u32 s8, s3, s8
	s_add_co_i32 s3, s3, s8
	s_wait_alu 0xfffe
	s_mul_hi_u32 s0, ttmp9, s3
	s_load_b32 s3, s[10:11], 0x10
	s_mul_i32 s1, s0, s2
	s_add_co_i32 s8, s0, 1
	s_sub_co_i32 s1, ttmp9, s1
	v_mov_b32_e32 v4, v7
	s_sub_co_i32 s16, s1, s2
	s_cmp_ge_u32 s1, s2
	s_cselect_b32 s0, s8, s0
	s_wait_alu 0xfffe
	s_cselect_b32 s1, s16, s1
	s_add_co_i32 s8, s0, 1
	s_cmp_ge_u32 s1, s2
	v_lshlrev_b64_e32 v[3:4], 2, v[3:4]
	s_cselect_b32 s16, s8, s0
	s_lshl_b64 s[22:23], s[6:7], 3
	s_wait_alu 0xfffe
	s_mul_i32 s0, s16, s2
	s_lshl_b32 s19, s18, 2
	s_sub_co_i32 s2, ttmp9, s0
	s_add_nc_u64 s[0:1], s[10:11], s[22:23]
	s_wait_alu 0xfffe
	s_mul_hi_u32 s6, s2, 0x24924925
	s_load_b64 s[0:1], s[0:1], 0x0
	s_sub_co_i32 s7, s2, s6
	v_add_nc_u32_e32 v1, s19, v1
	s_lshr_b32 s7, s7, 1
	s_wait_kmcnt 0x0
	s_add_nc_u64 s[10:11], s[20:21], s[22:23]
	s_add_co_i32 s7, s7, s6
	s_delay_alu instid0(SALU_CYCLE_1)
	s_lshr_b32 s6, s7, 2
	v_lshlrev_b64_e32 v[8:9], 2, v[1:2]
	s_mul_i32 s7, s6, 7
	v_add_nc_u32_e32 v1, s19, v1
	s_sub_co_i32 s2, s2, s7
	s_wait_alu 0xfffe
	s_add_co_i32 s7, s6, s2
	s_mul_i32 s6, s2, 28
	s_mul_hi_u32 s2, s7, 0x5397829d
	s_mul_i32 s8, s6, s18
	s_wait_alu 0xfffe
	s_lshr_b32 s2, s2, 4
	v_lshlrev_b64_e32 v[10:11], 2, v[1:2]
	s_wait_alu 0xfffe
	s_mul_i32 s2, s2, 49
	s_mul_u64 s[0:1], s[0:1], s[16:17]
	s_wait_alu 0xfffe
	s_sub_co_i32 s18, s7, s2
	s_lshl_b64 s[0:1], s[0:1], 2
	s_wait_alu 0xfffe
	s_mul_i32 s2, s18, s3
	s_add_nc_u64 s[0:1], s[12:13], s[0:1]
	s_wait_alu 0xfffe
	s_add_co_i32 s8, s2, s8
	v_add_nc_u32_e32 v1, s19, v1
	s_lshl_b64 s[2:3], s[8:9], 2
	s_mov_b32 s7, s9
	s_wait_alu 0xfffe
	s_add_nc_u64 s[0:1], s[0:1], s[2:3]
	s_delay_alu instid0(SALU_CYCLE_1) | instskip(SKIP_3) | instid1(VALU_DEP_4)
	v_add_co_u32 v20, vcc_lo, s0, v3
	v_lshlrev_b64_e32 v[12:13], 2, v[1:2]
	v_add_nc_u32_e32 v1, s19, v1
	v_add_co_ci_u32_e32 v21, vcc_lo, s1, v4, vcc_lo
	v_add_co_u32 v5, vcc_lo, v20, v5
	s_delay_alu instid0(VALU_DEP_3)
	v_lshlrev_b64_e32 v[14:15], 2, v[1:2]
	v_add_nc_u32_e32 v1, s19, v1
	s_wait_alu 0xfffd
	v_add_co_ci_u32_e32 v6, vcc_lo, v21, v6, vcc_lo
	v_add_co_u32 v7, vcc_lo, v20, v8
	s_wait_alu 0xfffd
	v_add_co_ci_u32_e32 v8, vcc_lo, v21, v9, vcc_lo
	v_add_co_u32 v9, vcc_lo, v20, v10
	v_lshlrev_b64_e32 v[16:17], 2, v[1:2]
	v_add_nc_u32_e32 v1, s19, v1
	s_wait_alu 0xfffd
	v_add_co_ci_u32_e32 v10, vcc_lo, v21, v11, vcc_lo
	v_add_co_u32 v11, vcc_lo, v20, v12
	s_wait_alu 0xfffd
	v_add_co_ci_u32_e32 v12, vcc_lo, v21, v13, vcc_lo
	v_lshlrev_b64_e32 v[3:4], 2, v[1:2]
	v_add_co_u32 v13, vcc_lo, v20, v14
	s_wait_alu 0xfffd
	v_add_co_ci_u32_e32 v14, vcc_lo, v21, v15, vcc_lo
	v_add_co_u32 v15, vcc_lo, v20, v16
	s_wait_alu 0xfffd
	v_add_co_ci_u32_e32 v16, vcc_lo, v21, v17, vcc_lo
	;; [unrolled: 3-line block ×3, first 2 shown]
	s_clause 0x6
	global_load_b32 v1, v[5:6], off
	global_load_b32 v5, v[7:8], off
	;; [unrolled: 1-line block ×7, first 2 shown]
	v_mul_u32_u24_e32 v3, 0x2493, v0
	v_lshlrev_b32_e32 v12, 2, v19
	s_clause 0x1
	s_load_b128 s[0:3], s[20:21], 0x0
	s_load_b64 s[10:11], s[10:11], 0x0
	s_wait_kmcnt 0x0
	s_load_b32 s3, s[20:21], 0x10
	v_lshrrev_b32_e32 v3, 16, v3
	s_delay_alu instid0(VALU_DEP_1) | instskip(SKIP_1) | instid1(VALU_DEP_2)
	v_add_nc_u16 v10, v3, s6
	v_mul_lo_u16 v3, v3, 7
	v_lshrrev_b16 v11, 2, v10
	s_delay_alu instid0(VALU_DEP_2) | instskip(NEXT) | instid1(VALU_DEP_2)
	v_sub_nc_u16 v3, v0, v3
	v_and_b32_e32 v11, 0xffff, v11
	s_delay_alu instid0(VALU_DEP_2) | instskip(NEXT) | instid1(VALU_DEP_2)
	v_and_b32_e32 v13, 0xffff, v3
	v_mul_u32_u24_e32 v11, 0x4925, v11
	s_delay_alu instid0(VALU_DEP_1) | instskip(NEXT) | instid1(VALU_DEP_1)
	v_lshrrev_b32_e32 v11, 17, v11
	v_mul_lo_u16 v11, v11, 28
	s_delay_alu instid0(VALU_DEP_1) | instskip(SKIP_1) | instid1(VALU_DEP_2)
	v_sub_nc_u16 v10, v10, v11
	v_mul_u32_u24_e32 v11, 0xc4, v18
	v_mul_lo_u16 v10, v10, 49
	s_delay_alu instid0(VALU_DEP_1) | instskip(NEXT) | instid1(VALU_DEP_3)
	v_and_b32_e32 v3, 0xffff, v10
	v_add3_u32 v10, 0, v11, v12
	v_lshlrev_b32_e32 v11, 2, v13
	s_delay_alu instid0(VALU_DEP_3) | instskip(NEXT) | instid1(VALU_DEP_3)
	v_lshlrev_b32_e32 v12, 2, v3
	v_add_nc_u32_e32 v14, 0x600, v10
	v_add_nc_u32_e32 v15, 0xc00, v10
	s_wait_loadcnt 0x5
	ds_store_2addr_b32 v10, v1, v5 offset1:196
	s_wait_loadcnt 0x3
	ds_store_2addr_b32 v14, v6, v7 offset0:8 offset1:204
	s_wait_loadcnt 0x1
	ds_store_2addr_b32 v15, v8, v9 offset0:16 offset1:212
	s_wait_loadcnt 0x0
	ds_store_b32 v10, v4 offset:4704
	v_add3_u32 v3, 0, v11, v12
	global_wb scope:SCOPE_SE
	s_wait_dscnt 0x0
	s_wait_kmcnt 0x0
	s_barrier_signal -1
	s_barrier_wait -1
	global_inv scope:SCOPE_SE
	ds_load_2addr_b32 v[4:5], v3 offset0:7 offset1:14
	ds_load_2addr_b32 v[6:7], v3 offset0:35 offset1:42
	;; [unrolled: 1-line block ×3, first 2 shown]
	v_add3_u32 v20, 0, v12, v11
	v_mul_u32_u24_e32 v1, 6, v13
	v_mad_u32_u24 v10, v13, 24, v3
	ds_load_b32 v11, v20
	v_lshlrev_b32_e32 v1, 2, v1
	global_wb scope:SCOPE_SE
	s_wait_dscnt 0x0
	s_barrier_signal -1
	s_barrier_wait -1
	global_inv scope:SCOPE_SE
	v_pk_add_f16 v12, v4, v7
	v_pk_add_f16 v13, v5, v6
	v_pk_add_f16 v5, v5, v6 neg_lo:[0,1] neg_hi:[0,1]
	v_pk_add_f16 v6, v8, v9
	v_pk_add_f16 v8, v9, v8 neg_lo:[0,1] neg_hi:[0,1]
	v_pk_add_f16 v4, v4, v7 neg_lo:[0,1] neg_hi:[0,1]
	v_pk_add_f16 v7, v13, v12
	v_pk_add_f16 v9, v13, v12 neg_lo:[0,1] neg_hi:[0,1]
	v_pk_add_f16 v12, v12, v6 neg_lo:[0,1] neg_hi:[0,1]
	v_pk_add_f16 v14, v8, v5 op_sel:[1,1] op_sel_hi:[0,0]
	v_pk_add_f16 v15, v4, v8 op_sel:[1,1] op_sel_hi:[0,0] neg_lo:[0,1] neg_hi:[0,1]
	v_pk_add_f16 v16, v5, v4 op_sel:[1,1] op_sel_hi:[0,0] neg_lo:[0,1] neg_hi:[0,1]
	v_pk_add_f16 v13, v6, v13 neg_lo:[0,1] neg_hi:[0,1]
	v_pk_add_f16 v6, v6, v7
	v_pk_add_f16 v5, v8, v5 op_sel:[1,1] op_sel_hi:[0,0] neg_lo:[0,1] neg_hi:[0,1]
	v_pk_add_f16 v4, v14, v4 op_sel:[0,1] op_sel_hi:[1,0]
	v_pk_mul_f16 v7, 0x3a52, v12 op_sel_hi:[0,1]
	v_pk_mul_f16 v8, 0xbb00, v16 op_sel_hi:[0,1]
	v_pk_mul_f16 v12, 0x39e0, v9 op_sel_hi:[0,1]
	v_pk_add_f16 v11, v6, v11
	v_pk_mul_f16 v14, 0xb574, v15 op_sel_hi:[0,1]
	v_pk_fma_f16 v9, 0x39e0, v9, v7 op_sel_hi:[0,1,1] neg_lo:[0,1,1] neg_hi:[0,1,1]
	v_pk_fma_f16 v15, 0xb574, v15, v8 op_sel_hi:[0,1,1] neg_lo:[0,1,1] neg_hi:[0,1,1]
	;; [unrolled: 1-line block ×3, first 2 shown]
	v_pk_fma_f16 v6, 0xbcab, v6, v11 op_sel_hi:[0,1,1]
	v_pk_fma_f16 v8, 0x3846, v5, v8 op_sel_hi:[0,1,1] neg_lo:[0,1,0] neg_hi:[0,1,0]
	v_pk_fma_f16 v7, 0x2b26, v13, v7 op_sel_hi:[0,1,1]
	v_pk_fma_f16 v5, 0x3846, v5, v14 op_sel_hi:[0,1,1]
	v_pk_fma_f16 v13, 0xb70e, v4, v15 op_sel_hi:[0,1,1]
	v_pk_add_f16 v9, v9, v6
	v_pk_fma_f16 v8, 0xb70e, v4, v8 op_sel_hi:[0,1,1]
	v_pk_add_f16 v12, v12, v6
	v_pk_fma_f16 v4, 0xb70e, v4, v5 op_sel_hi:[0,1,1]
	v_pk_add_f16 v5, v7, v6
	v_pk_add_f16 v6, v9, v13
	v_pk_add_f16 v7, v9, v13 neg_lo:[0,1] neg_hi:[0,1]
	v_pk_add_f16 v9, v12, v8 neg_lo:[0,1] neg_hi:[0,1]
	v_pk_add_f16 v8, v12, v8
	v_pk_add_f16 v12, v5, v4
	v_pk_add_f16 v4, v5, v4 neg_lo:[0,1] neg_hi:[0,1]
	v_bfi_b32 v5, 0xffff, v6, v7
	v_bfi_b32 v6, 0xffff, v7, v6
	;; [unrolled: 1-line block ×6, first 2 shown]
	ds_store_b32 v10, v11
	ds_store_2addr_b32 v10, v9, v5 offset0:1 offset1:2
	ds_store_2addr_b32 v10, v13, v8 offset0:3 offset1:4
	;; [unrolled: 1-line block ×3, first 2 shown]
	global_wb scope:SCOPE_SE
	s_wait_dscnt 0x0
	s_barrier_signal -1
	s_barrier_wait -1
	global_inv scope:SCOPE_SE
	s_clause 0x1
	global_load_b128 v[4:7], v1, s[4:5]
	global_load_b64 v[8:9], v1, s[4:5] offset:16
	v_mul_u32_u24_e32 v1, 0x925, v0
	ds_load_2addr_b32 v[16:17], v3 offset0:7 offset1:14
	s_mov_b32 s5, s9
	s_mul_u64 s[8:9], s[10:11], s[16:17]
	s_mul_i32 s4, s18, s2
	v_lshrrev_b32_e32 v12, 16, v1
	s_lshl_b64 s[4:5], s[4:5], 2
	s_delay_alu instid0(VALU_DEP_1) | instskip(NEXT) | instid1(VALU_DEP_1)
	v_mul_lo_u16 v1, v12, 28
	v_sub_nc_u16 v10, v0, v1
	s_delay_alu instid0(VALU_DEP_1)
	v_and_b32_e32 v11, 0xffff, v10
	v_mul_lo_u16 v13, v10, 49
	s_wait_dscnt 0x0
	v_lshrrev_b32_e32 v30, 16, v16
	v_lshrrev_b32_e32 v31, 16, v17
	v_mad_co_u64_u32 v[0:1], null, s0, v11, 0
	s_delay_alu instid0(VALU_DEP_1)
	v_mad_co_u64_u32 v[10:11], null, s1, v11, v[1:2]
	v_and_b32_e32 v1, 0xffff, v13
	v_lshlrev_b32_e32 v11, 2, v12
	s_mul_u64 s[0:1], s[0:1], s[6:7]
	s_lshl_b64 s[6:7], s[8:9], 2
	s_wait_alu 0xfffe
	s_lshl_b64 s[0:1], s[0:1], 2
	v_lshlrev_b32_e32 v13, 2, v1
	v_mov_b32_e32 v1, v10
	s_add_nc_u64 s[6:7], s[14:15], s[6:7]
	s_wait_alu 0xfffe
	s_add_nc_u64 s[0:1], s[6:7], s[0:1]
	v_add3_u32 v26, 0, v13, v11
	v_add3_u32 v27, 0, v11, v13
	v_lshlrev_b64_e32 v[10:11], 2, v[0:1]
	ds_load_2addr_b32 v[18:19], v3 offset0:21 offset1:28
	ds_load_b32 v0, v20
	ds_load_2addr_b32 v[20:21], v3 offset0:35 offset1:42
	v_mul_lo_u32 v1, s3, v12
	s_mul_i32 s3, s3, 7
	s_wait_alu 0xfffe
	s_add_nc_u64 s[0:1], s[0:1], s[4:5]
	global_wb scope:SCOPE_SE
	s_wait_loadcnt_dscnt 0x0
	s_wait_alu 0xfffe
	v_add_co_u32 v28, vcc_lo, s0, v10
	s_wait_alu 0xfffd
	v_add_co_ci_u32_e32 v29, vcc_lo, s1, v11, vcc_lo
	v_lshlrev_b64_e32 v[12:13], 2, v[1:2]
	v_add_nc_u32_e32 v1, s3, v1
	s_barrier_signal -1
	s_barrier_wait -1
	global_inv scope:SCOPE_SE
	v_lshlrev_b64_e32 v[10:11], 2, v[1:2]
	v_add_nc_u32_e32 v1, s3, v1
	v_add_co_u32 v12, vcc_lo, v28, v12
	v_lshrrev_b32_e32 v32, 16, v18
	v_lshrrev_b32_e32 v34, 16, v20
	;; [unrolled: 1-line block ×5, first 2 shown]
	v_lshlrev_b64_e32 v[14:15], 2, v[1:2]
	v_add_nc_u32_e32 v1, s3, v1
	s_wait_alu 0xfffd
	v_add_co_ci_u32_e32 v13, vcc_lo, v29, v13, vcc_lo
	v_add_co_u32 v10, vcc_lo, v28, v10
	s_delay_alu instid0(VALU_DEP_3) | instskip(SKIP_4) | instid1(VALU_DEP_3)
	v_lshlrev_b64_e32 v[22:23], 2, v[1:2]
	v_add_nc_u32_e32 v1, s3, v1
	s_wait_alu 0xfffd
	v_add_co_ci_u32_e32 v11, vcc_lo, v29, v11, vcc_lo
	v_add_co_u32 v14, vcc_lo, v28, v14
	v_lshlrev_b64_e32 v[24:25], 2, v[1:2]
	v_add_nc_u32_e32 v1, s3, v1
	s_wait_alu 0xfffd
	v_add_co_ci_u32_e32 v15, vcc_lo, v29, v15, vcc_lo
	v_lshrrev_b32_e32 v37, 16, v4
	v_lshrrev_b32_e32 v38, 16, v5
	;; [unrolled: 1-line block ×6, first 2 shown]
	v_mul_f16_e32 v43, v37, v30
	v_mul_f16_e32 v37, v37, v16
	;; [unrolled: 1-line block ×12, first 2 shown]
	v_fmac_f16_e32 v43, v4, v16
	v_fma_f16 v4, v4, v30, -v37
	v_fmac_f16_e32 v44, v5, v17
	v_fma_f16 v5, v5, v31, -v38
	;; [unrolled: 2-line block ×6, first 2 shown]
	v_add_f16_e32 v16, v43, v48
	v_add_f16_e32 v17, v4, v9
	v_sub_f16_e32 v4, v4, v9
	v_add_f16_e32 v9, v44, v47
	v_add_f16_e32 v19, v5, v8
	v_sub_f16_e32 v20, v44, v47
	v_sub_f16_e32 v5, v5, v8
	v_add_f16_e32 v8, v45, v46
	v_add_f16_e32 v21, v6, v7
	v_sub_f16_e32 v30, v46, v45
	v_sub_f16_e32 v6, v7, v6
	v_add_f16_e32 v7, v9, v16
	v_add_f16_e32 v31, v19, v17
	v_sub_f16_e32 v18, v43, v48
	v_sub_f16_e32 v32, v9, v16
	v_sub_f16_e32 v33, v19, v17
	;; [unrolled: 1-line block ×6, first 2 shown]
	v_add_f16_e32 v34, v30, v20
	v_add_f16_e32 v35, v6, v5
	v_sub_f16_e32 v37, v30, v20
	v_sub_f16_e32 v38, v6, v5
	v_add_f16_e32 v7, v8, v7
	v_add_f16_e32 v8, v21, v31
	v_sub_f16_e32 v20, v20, v18
	v_sub_f16_e32 v5, v5, v4
	v_sub_f16_e32 v30, v18, v30
	v_sub_f16_e32 v6, v4, v6
	v_add_f16_e32 v18, v34, v18
	v_add_f16_e32 v4, v35, v4
	v_mul_f16_e32 v16, 0x3a52, v16
	v_mul_f16_e32 v17, 0x3a52, v17
	v_mul_f16_e32 v21, 0x2b26, v9
	v_mul_f16_e32 v31, 0x2b26, v19
	v_mul_f16_e32 v34, 0x3846, v37
	v_mul_f16_e32 v35, 0x3846, v38
	v_add_f16_e32 v0, v7, v0
	v_add_f16_e32 v36, v8, v36
	v_mul_f16_e32 v37, 0xbb00, v20
	v_mul_f16_e32 v38, 0xbb00, v5
	v_fmamk_f16 v9, v9, 0x2b26, v16
	v_fmamk_f16 v19, v19, 0x2b26, v17
	v_fma_f16 v21, v32, 0x39e0, -v21
	v_fma_f16 v31, v33, 0x39e0, -v31
	;; [unrolled: 1-line block ×4, first 2 shown]
	v_fmamk_f16 v32, v30, 0xb574, v34
	v_fmamk_f16 v33, v6, 0xb574, v35
	v_fma_f16 v20, v20, 0xbb00, -v34
	v_fma_f16 v5, v5, 0xbb00, -v35
	v_lshlrev_b32_e32 v34, 16, v36
	v_and_b32_e32 v35, 0xffff, v0
	v_fmac_f16_e32 v0, 0xbcab, v7
	v_fmac_f16_e32 v36, 0xbcab, v8
	v_fma_f16 v30, v30, 0x3574, -v37
	v_fma_f16 v6, v6, 0x3574, -v38
	v_fmac_f16_e32 v32, 0xb70e, v18
	v_fmac_f16_e32 v33, 0xb70e, v4
	v_add_f16_e32 v7, v9, v0
	v_add_f16_e32 v8, v19, v36
	v_fmac_f16_e32 v20, 0xb70e, v18
	v_fmac_f16_e32 v5, 0xb70e, v4
	;; [unrolled: 1-line block ×4, first 2 shown]
	v_add_f16_e32 v9, v21, v0
	v_add_f16_e32 v0, v16, v0
	;; [unrolled: 1-line block ×5, first 2 shown]
	v_sub_f16_e32 v19, v8, v32
	v_or_b32_e32 v4, v34, v35
	v_add_f16_e32 v21, v6, v0
	v_sub_f16_e32 v31, v16, v30
	v_sub_f16_e32 v34, v9, v5
	v_add_f16_e32 v35, v20, v17
	v_add_f16_e32 v5, v5, v9
	v_sub_f16_e32 v9, v17, v20
	v_sub_f16_e32 v0, v0, v6
	v_add_f16_e32 v6, v30, v16
	v_sub_f16_e32 v7, v7, v33
	v_add_f16_e32 v8, v32, v8
	v_pack_b32_f16 v16, v18, v19
	v_pack_b32_f16 v17, v21, v31
	;; [unrolled: 1-line block ×6, first 2 shown]
	ds_store_2addr_b32 v3, v4, v16 offset1:7
	ds_store_2addr_b32 v3, v17, v18 offset0:14 offset1:21
	ds_store_2addr_b32 v3, v5, v0 offset0:28 offset1:35
	ds_store_b32 v3, v6 offset:168
	global_wb scope:SCOPE_SE
	s_wait_dscnt 0x0
	s_barrier_signal -1
	s_barrier_wait -1
	global_inv scope:SCOPE_SE
	ds_load_b32 v9, v26
	ds_load_2addr_b32 v[3:4], v27 offset0:7 offset1:14
	ds_load_2addr_b32 v[7:8], v27 offset0:21 offset1:28
	;; [unrolled: 1-line block ×3, first 2 shown]
	v_lshlrev_b64_e32 v[16:17], 2, v[1:2]
	v_add_nc_u32_e32 v1, s3, v1
	v_add_co_u32 v5, vcc_lo, v28, v22
	s_wait_alu 0xfffd
	v_add_co_ci_u32_e32 v6, vcc_lo, v29, v23, vcc_lo
	v_add_co_u32 v20, vcc_lo, v28, v24
	v_lshlrev_b64_e32 v[0:1], 2, v[1:2]
	s_wait_alu 0xfffd
	v_add_co_ci_u32_e32 v21, vcc_lo, v29, v25, vcc_lo
	v_add_co_u32 v16, vcc_lo, v28, v16
	s_wait_alu 0xfffd
	v_add_co_ci_u32_e32 v17, vcc_lo, v29, v17, vcc_lo
	v_add_co_u32 v0, vcc_lo, v28, v0
	s_wait_alu 0xfffd
	v_add_co_ci_u32_e32 v1, vcc_lo, v29, v1, vcc_lo
	s_wait_dscnt 0x3
	global_store_b32 v[12:13], v9, off
	s_wait_dscnt 0x2
	s_clause 0x1
	global_store_b32 v[10:11], v3, off
	global_store_b32 v[14:15], v4, off
	s_wait_dscnt 0x1
	s_clause 0x1
	global_store_b32 v[5:6], v7, off
	;; [unrolled: 4-line block ×3, first 2 shown]
	global_store_b32 v[0:1], v19, off
	s_nop 0
	s_sendmsg sendmsg(MSG_DEALLOC_VGPRS)
	s_endpgm
	.section	.rodata,"a",@progbits
	.p2align	6, 0x0
	.amdhsa_kernel fft_rtc_back_len49_factors_7_7_wgs_196_tpt_7_half_op_CI_CI_sbrc_z_xy_diag
		.amdhsa_group_segment_fixed_size 0
		.amdhsa_private_segment_fixed_size 0
		.amdhsa_kernarg_size 104
		.amdhsa_user_sgpr_count 2
		.amdhsa_user_sgpr_dispatch_ptr 0
		.amdhsa_user_sgpr_queue_ptr 0
		.amdhsa_user_sgpr_kernarg_segment_ptr 1
		.amdhsa_user_sgpr_dispatch_id 0
		.amdhsa_user_sgpr_private_segment_size 0
		.amdhsa_wavefront_size32 1
		.amdhsa_uses_dynamic_stack 0
		.amdhsa_enable_private_segment 0
		.amdhsa_system_sgpr_workgroup_id_x 1
		.amdhsa_system_sgpr_workgroup_id_y 0
		.amdhsa_system_sgpr_workgroup_id_z 0
		.amdhsa_system_sgpr_workgroup_info 0
		.amdhsa_system_vgpr_workitem_id 0
		.amdhsa_next_free_vgpr 49
		.amdhsa_next_free_sgpr 24
		.amdhsa_reserve_vcc 1
		.amdhsa_float_round_mode_32 0
		.amdhsa_float_round_mode_16_64 0
		.amdhsa_float_denorm_mode_32 3
		.amdhsa_float_denorm_mode_16_64 3
		.amdhsa_fp16_overflow 0
		.amdhsa_workgroup_processor_mode 1
		.amdhsa_memory_ordered 1
		.amdhsa_forward_progress 0
		.amdhsa_round_robin_scheduling 0
		.amdhsa_exception_fp_ieee_invalid_op 0
		.amdhsa_exception_fp_denorm_src 0
		.amdhsa_exception_fp_ieee_div_zero 0
		.amdhsa_exception_fp_ieee_overflow 0
		.amdhsa_exception_fp_ieee_underflow 0
		.amdhsa_exception_fp_ieee_inexact 0
		.amdhsa_exception_int_div_zero 0
	.end_amdhsa_kernel
	.text
.Lfunc_end0:
	.size	fft_rtc_back_len49_factors_7_7_wgs_196_tpt_7_half_op_CI_CI_sbrc_z_xy_diag, .Lfunc_end0-fft_rtc_back_len49_factors_7_7_wgs_196_tpt_7_half_op_CI_CI_sbrc_z_xy_diag
                                        ; -- End function
	.section	.AMDGPU.csdata,"",@progbits
; Kernel info:
; codeLenInByte = 3040
; NumSgprs: 26
; NumVgprs: 49
; ScratchSize: 0
; MemoryBound: 0
; FloatMode: 240
; IeeeMode: 1
; LDSByteSize: 0 bytes/workgroup (compile time only)
; SGPRBlocks: 3
; VGPRBlocks: 6
; NumSGPRsForWavesPerEU: 26
; NumVGPRsForWavesPerEU: 49
; Occupancy: 16
; WaveLimiterHint : 1
; COMPUTE_PGM_RSRC2:SCRATCH_EN: 0
; COMPUTE_PGM_RSRC2:USER_SGPR: 2
; COMPUTE_PGM_RSRC2:TRAP_HANDLER: 0
; COMPUTE_PGM_RSRC2:TGID_X_EN: 1
; COMPUTE_PGM_RSRC2:TGID_Y_EN: 0
; COMPUTE_PGM_RSRC2:TGID_Z_EN: 0
; COMPUTE_PGM_RSRC2:TIDIG_COMP_CNT: 0
	.text
	.p2alignl 7, 3214868480
	.fill 96, 4, 3214868480
	.type	__hip_cuid_baf8e7aec92ca2f3,@object ; @__hip_cuid_baf8e7aec92ca2f3
	.section	.bss,"aw",@nobits
	.globl	__hip_cuid_baf8e7aec92ca2f3
__hip_cuid_baf8e7aec92ca2f3:
	.byte	0                               ; 0x0
	.size	__hip_cuid_baf8e7aec92ca2f3, 1

	.ident	"AMD clang version 19.0.0git (https://github.com/RadeonOpenCompute/llvm-project roc-6.4.0 25133 c7fe45cf4b819c5991fe208aaa96edf142730f1d)"
	.section	".note.GNU-stack","",@progbits
	.addrsig
	.addrsig_sym __hip_cuid_baf8e7aec92ca2f3
	.amdgpu_metadata
---
amdhsa.kernels:
  - .args:
      - .actual_access:  read_only
        .address_space:  global
        .offset:         0
        .size:           8
        .value_kind:     global_buffer
      - .offset:         8
        .size:           8
        .value_kind:     by_value
      - .actual_access:  read_only
        .address_space:  global
        .offset:         16
        .size:           8
        .value_kind:     global_buffer
      - .actual_access:  read_only
        .address_space:  global
        .offset:         24
        .size:           8
        .value_kind:     global_buffer
      - .actual_access:  read_only
        .address_space:  global
        .offset:         32
        .size:           8
        .value_kind:     global_buffer
      - .offset:         40
        .size:           8
        .value_kind:     by_value
      - .actual_access:  read_only
        .address_space:  global
        .offset:         48
        .size:           8
        .value_kind:     global_buffer
      - .actual_access:  read_only
        .address_space:  global
        .offset:         56
        .size:           8
        .value_kind:     global_buffer
      - .offset:         64
        .size:           4
        .value_kind:     by_value
      - .actual_access:  read_only
        .address_space:  global
        .offset:         72
        .size:           8
        .value_kind:     global_buffer
      - .actual_access:  read_only
        .address_space:  global
        .offset:         80
        .size:           8
        .value_kind:     global_buffer
      - .actual_access:  read_only
        .address_space:  global
        .offset:         88
        .size:           8
        .value_kind:     global_buffer
      - .actual_access:  write_only
        .address_space:  global
        .offset:         96
        .size:           8
        .value_kind:     global_buffer
    .group_segment_fixed_size: 0
    .kernarg_segment_align: 8
    .kernarg_segment_size: 104
    .language:       OpenCL C
    .language_version:
      - 2
      - 0
    .max_flat_workgroup_size: 196
    .name:           fft_rtc_back_len49_factors_7_7_wgs_196_tpt_7_half_op_CI_CI_sbrc_z_xy_diag
    .private_segment_fixed_size: 0
    .sgpr_count:     26
    .sgpr_spill_count: 0
    .symbol:         fft_rtc_back_len49_factors_7_7_wgs_196_tpt_7_half_op_CI_CI_sbrc_z_xy_diag.kd
    .uniform_work_group_size: 1
    .uses_dynamic_stack: false
    .vgpr_count:     49
    .vgpr_spill_count: 0
    .wavefront_size: 32
    .workgroup_processor_mode: 1
amdhsa.target:   amdgcn-amd-amdhsa--gfx1201
amdhsa.version:
  - 1
  - 2
...

	.end_amdgpu_metadata
